;; amdgpu-corpus repo=zjin-lcf/HeCBench kind=compiled arch=gfx906 opt=O3
	.amdgcn_target "amdgcn-amd-amdhsa--gfx906"
	.amdhsa_code_object_version 6
	.text
	.protected	_Z4rtm8PKfS0_S0_PfS1_S1_S0_m ; -- Begin function _Z4rtm8PKfS0_S0_PfS1_S1_S0_m
	.globl	_Z4rtm8PKfS0_S0_PfS1_S1_S0_m
	.p2align	8
	.type	_Z4rtm8PKfS0_S0_PfS1_S1_S0_m,@function
_Z4rtm8PKfS0_S0_PfS1_S1_S0_m:           ; @_Z4rtm8PKfS0_S0_PfS1_S1_S0_m
; %bb.0:
	s_load_dwordx2 s[0:1], s[4:5], 0x4c
	s_waitcnt lgkmcnt(0)
	s_lshr_b32 s2, s0, 16
	s_and_b32 s0, s0, 0xffff
	s_mul_i32 s6, s6, s0
	s_and_b32 s1, s1, 0xffff
	v_add_u32_e32 v8, s6, v0
	s_mul_i32 s7, s7, s2
	v_add_u32_e32 v1, s7, v1
	s_mul_i32 s8, s8, s1
	v_add_u32_e32 v10, -4, v8
	s_movk_i32 s0, 0x2a0
	v_add_u32_e32 v0, s8, v2
	v_cmp_gt_u32_e32 vcc, s0, v10
	v_add_u32_e32 v9, -4, v1
	s_movk_i32 s0, 0x7e
	v_cmp_gt_u32_e64 s[0:1], s0, v9
	v_add_u32_e32 v7, -4, v0
	s_movk_i32 s2, 0x1ba
	s_and_b64 s[0:1], vcc, s[0:1]
	v_cmp_gt_u32_e32 vcc, s2, v7
	s_and_b64 s[0:1], s[0:1], vcc
	s_and_saveexec_b64 s[2:3], s[0:1]
	s_cbranch_execz .LBB0_2
; %bb.1:
	s_load_dwordx8 s[8:15], s[4:5], 0x0
	s_load_dwordx4 s[0:3], s[4:5], 0x20
	s_load_dwordx2 s[18:19], s[4:5], 0x30
	s_mov_b32 s17, 0x163f0
	v_mul_lo_u32 v11, v0, s17
	v_mov_b32_e32 v47, 0
	v_mov_b32_e32 v16, v47
	s_waitcnt lgkmcnt(0)
	s_load_dwordx4 s[4:7], s[18:19], 0x0
	s_load_dword s16, s[18:19], 0x10
	s_movk_i32 s18, 0x2a8
	v_mul_lo_u32 v12, v1, s18
	v_mov_b32_e32 v1, s11
	v_mov_b32_e32 v49, s13
	v_add_u32_e32 v6, v12, v8
	v_add_u32_e32 v46, v6, v11
	v_lshlrev_b64 v[4:5], 2, v[46:47]
	v_add_u32_e32 v15, -1, v46
	v_add_co_u32_e32 v0, vcc, s10, v4
	v_addc_co_u32_e32 v1, vcc, v1, v5, vcc
	global_load_dword v48, v[0:1], off
	v_add_co_u32_e32 v0, vcc, v6, v11
	v_addc_co_u32_e64 v1, s[20:21], 0, 0, vcc
	v_lshlrev_b64 v[36:37], 2, v[0:1]
	v_mov_b32_e32 v0, s11
	v_add_co_u32_e32 v13, vcc, s10, v36
	v_lshlrev_b64 v[38:39], 2, v[15:16]
	v_addc_co_u32_e32 v14, vcc, v0, v37, vcc
	v_add_co_u32_e32 v15, vcc, s10, v38
	v_mov_b32_e32 v16, s11
	v_addc_co_u32_e32 v16, vcc, v16, v39, vcc
	global_load_dwordx4 v[0:3], v[13:14], off offset:4
	s_nop 0
	global_load_dword v15, v[15:16], off
	s_waitcnt vmcnt(0)
	v_add_f32_e32 v0, v0, v15
	global_load_dword v13, v[13:14], off offset:2720
	v_mov_b32_e32 v14, v47
	s_waitcnt vmcnt(0)
	v_add_f32_e32 v0, v0, v13
	v_add_u32_e32 v13, 0xfffffd58, v46
	v_lshlrev_b64 v[28:29], 2, v[13:14]
	v_mov_b32_e32 v14, s11
	v_add_co_u32_e32 v13, vcc, s10, v28
	v_addc_co_u32_e32 v14, vcc, v14, v29, vcc
	global_load_dword v13, v[13:14], off
	v_mov_b32_e32 v14, v47
	s_waitcnt vmcnt(0)
	v_add_f32_e32 v0, v0, v13
	v_add_u32_e32 v13, 0x163f0, v46
	v_lshlrev_b64 v[24:25], 2, v[13:14]
	v_mov_b32_e32 v14, s11
	v_add_co_u32_e32 v13, vcc, s10, v24
	v_addc_co_u32_e32 v14, vcc, v14, v25, vcc
	global_load_dword v13, v[13:14], off
	;; [unrolled: 9-line block ×3, first 2 shown]
	v_mov_b32_e32 v14, v47
	s_waitcnt vmcnt(0)
	v_add_f32_e32 v0, v0, v13
	v_add_u32_e32 v13, -2, v46
	v_lshlrev_b64 v[42:43], 2, v[13:14]
	v_mov_b32_e32 v14, s11
	v_add_co_u32_e32 v13, vcc, s10, v42
	v_addc_co_u32_e32 v14, vcc, v14, v43, vcc
	global_load_dword v13, v[13:14], off
	v_mov_b32_e32 v14, v47
	s_waitcnt lgkmcnt(0)
	v_mul_f32_e32 v0, s5, v0
	v_fmac_f32_e32 v0, s4, v48
	s_waitcnt vmcnt(0)
	v_add_f32_e32 v1, v1, v13
	v_add_u32_e32 v13, 0x550, v46
	v_lshlrev_b64 v[34:35], 2, v[13:14]
	v_mov_b32_e32 v14, s11
	v_add_co_u32_e32 v13, vcc, s10, v34
	v_addc_co_u32_e32 v14, vcc, v14, v35, vcc
	global_load_dword v13, v[13:14], off
	v_mov_b32_e32 v14, v47
	s_waitcnt vmcnt(0)
	v_add_f32_e32 v1, v1, v13
	v_add_u32_e32 v13, 0xfffffab0, v46
	v_lshlrev_b64 v[30:31], 2, v[13:14]
	v_mov_b32_e32 v14, s11
	v_add_co_u32_e32 v13, vcc, s10, v30
	v_addc_co_u32_e32 v14, vcc, v14, v31, vcc
	global_load_dword v13, v[13:14], off
	v_mov_b32_e32 v14, v47
	;; [unrolled: 9-line block ×4, first 2 shown]
	s_waitcnt vmcnt(0)
	v_add_f32_e32 v1, v1, v13
	v_add_u32_e32 v13, -3, v46
	v_lshlrev_b64 v[44:45], 2, v[13:14]
	v_fmac_f32_e32 v0, s6, v1
	v_add_co_u32_e32 v13, vcc, s10, v44
	v_mov_b32_e32 v1, s11
	v_addc_co_u32_e32 v14, vcc, v1, v45, vcc
	global_load_dword v1, v[13:14], off
	s_waitcnt vmcnt(0)
	v_add_f32_e32 v13, v2, v1
	v_add_u32_e32 v1, 0x7f8, v46
	v_mov_b32_e32 v2, v47
	v_lshlrev_b64 v[40:41], 2, v[1:2]
	v_mov_b32_e32 v2, s11
	v_add_co_u32_e32 v1, vcc, s10, v40
	v_addc_co_u32_e32 v2, vcc, v2, v41, vcc
	global_load_dword v1, v[1:2], off
	v_mov_b32_e32 v2, v47
	s_waitcnt vmcnt(0)
	v_add_f32_e32 v13, v13, v1
	v_add_u32_e32 v1, 0xfffff808, v46
	v_lshlrev_b64 v[32:33], 2, v[1:2]
	v_mov_b32_e32 v2, s11
	v_add_co_u32_e32 v1, vcc, s10, v32
	v_addc_co_u32_e32 v2, vcc, v2, v33, vcc
	global_load_dword v1, v[1:2], off
	v_mov_b32_e32 v2, v47
	s_waitcnt vmcnt(0)
	v_add_f32_e32 v13, v13, v1
	v_add_u32_e32 v1, 0x42bd0, v46
	;; [unrolled: 9-line block ×3, first 2 shown]
	v_lshlrev_b64 v[16:17], 2, v[1:2]
	v_mov_b32_e32 v2, s11
	v_add_co_u32_e32 v1, vcc, s10, v16
	v_addc_co_u32_e32 v2, vcc, v2, v17, vcc
	global_load_dword v1, v[1:2], off
	v_mov_b32_e32 v2, v47
	s_waitcnt vmcnt(0)
	v_add_f32_e32 v1, v13, v1
	v_fmac_f32_e32 v0, s7, v1
	v_add3_u32 v1, v11, v12, v10
	v_lshlrev_b64 v[14:15], 2, v[1:2]
	v_mov_b32_e32 v2, s11
	v_add_co_u32_e32 v1, vcc, s10, v14
	v_addc_co_u32_e32 v2, vcc, v2, v15, vcc
	global_load_dword v1, v[1:2], off
	v_mov_b32_e32 v2, v47
	s_waitcnt vmcnt(0)
	v_add_f32_e32 v3, v3, v1
	v_add_u32_e32 v1, 0xaa0, v46
	v_lshlrev_b64 v[12:13], 2, v[1:2]
	v_mov_b32_e32 v2, s11
	v_add_co_u32_e32 v1, vcc, s10, v12
	v_addc_co_u32_e32 v2, vcc, v2, v13, vcc
	global_load_dword v1, v[1:2], off
	v_mov_b32_e32 v2, v47
	v_add_u32_e32 v46, 0x58fc0, v46
	s_waitcnt vmcnt(0)
	v_add_f32_e32 v3, v3, v1
	v_mul_lo_u32 v1, v9, s18
	v_add3_u32 v1, v11, v8, v1
	v_lshlrev_b64 v[10:11], 2, v[1:2]
	v_mov_b32_e32 v2, s11
	v_add_co_u32_e32 v1, vcc, s10, v10
	v_addc_co_u32_e32 v2, vcc, v2, v11, vcc
	global_load_dword v1, v[1:2], off
	v_lshlrev_b64 v[8:9], 2, v[46:47]
	v_mov_b32_e32 v2, s11
	s_waitcnt vmcnt(0)
	v_add_f32_e32 v3, v3, v1
	v_add_co_u32_e32 v1, vcc, s10, v8
	v_addc_co_u32_e32 v2, vcc, v2, v9, vcc
	global_load_dword v1, v[1:2], off
	s_waitcnt vmcnt(0)
	v_add_f32_e32 v3, v3, v1
	v_mad_u64_u32 v[1:2], s[18:19], v7, s17, v[6:7]
	v_mov_b32_e32 v2, v47
	v_lshlrev_b64 v[6:7], 2, v[1:2]
	v_mov_b32_e32 v2, s11
	v_add_co_u32_e32 v1, vcc, s10, v6
	v_addc_co_u32_e32 v2, vcc, v2, v7, vcc
	global_load_dword v1, v[1:2], off
	v_mov_b32_e32 v2, s15
	s_waitcnt vmcnt(0)
	v_add_f32_e32 v1, v3, v1
	v_fmac_f32_e32 v0, s16, v1
	v_add_co_u32_e32 v1, vcc, s14, v4
	v_addc_co_u32_e32 v2, vcc, v2, v5, vcc
	global_load_dword v3, v[1:2], off
	v_add_co_u32_e32 v47, vcc, s8, v4
	s_waitcnt vmcnt(0)
	v_fma_f32 v46, v48, 2.0, -v3
	v_mov_b32_e32 v3, s9
	v_addc_co_u32_e32 v48, vcc, v3, v5, vcc
	global_load_dword v47, v[47:48], off
	s_waitcnt vmcnt(0)
	v_fmac_f32_e32 v46, v47, v0
	global_store_dword v[1:2], v46, off
	v_add_co_u32_e32 v0, vcc, s12, v4
	v_mov_b32_e32 v1, s13
	v_addc_co_u32_e32 v1, vcc, v1, v5, vcc
	global_load_dword v48, v[0:1], off
	v_add_co_u32_e32 v36, vcc, s12, v36
	v_mov_b32_e32 v0, s13
	v_addc_co_u32_e32 v37, vcc, v0, v37, vcc
	v_add_co_u32_e32 v38, vcc, s12, v38
	v_addc_co_u32_e32 v39, vcc, v49, v39, vcc
	global_load_dwordx4 v[0:3], v[36:37], off offset:4
	v_add_co_u32_e32 v28, vcc, s12, v28
	global_load_dword v38, v[38:39], off
	s_waitcnt vmcnt(0)
	v_add_f32_e32 v0, v0, v38
	global_load_dword v36, v[36:37], off offset:2720
	s_waitcnt vmcnt(0)
	v_add_f32_e32 v0, v0, v36
	v_mov_b32_e32 v36, s13
	v_addc_co_u32_e32 v29, vcc, v36, v29, vcc
	global_load_dword v28, v[28:29], off
	v_add_co_u32_e32 v24, vcc, s12, v24
	s_waitcnt vmcnt(0)
	v_add_f32_e32 v0, v0, v28
	v_mov_b32_e32 v28, s13
	v_addc_co_u32_e32 v25, vcc, v28, v25, vcc
	global_load_dword v24, v[24:25], off
	v_add_co_u32_e32 v18, vcc, s12, v18
	;; [unrolled: 6-line block ×3, first 2 shown]
	s_waitcnt vmcnt(0)
	v_add_f32_e32 v0, v0, v18
	v_mul_f32_e32 v18, s5, v0
	v_mov_b32_e32 v0, s13
	v_addc_co_u32_e32 v25, vcc, v0, v43, vcc
	global_load_dword v0, v[24:25], off
	v_fmac_f32_e32 v18, s4, v48
	s_waitcnt vmcnt(0)
	v_add_f32_e32 v19, v1, v0
	v_add_co_u32_e32 v0, vcc, s12, v34
	v_mov_b32_e32 v1, s13
	v_addc_co_u32_e32 v1, vcc, v1, v35, vcc
	global_load_dword v0, v[0:1], off
	v_mov_b32_e32 v1, s13
	s_waitcnt vmcnt(0)
	v_add_f32_e32 v19, v19, v0
	v_add_co_u32_e32 v0, vcc, s12, v30
	v_addc_co_u32_e32 v1, vcc, v1, v31, vcc
	global_load_dword v0, v[0:1], off
	v_mov_b32_e32 v1, s13
	s_waitcnt vmcnt(0)
	v_add_f32_e32 v19, v19, v0
	v_add_co_u32_e32 v0, vcc, s12, v26
	;; [unrolled: 6-line block ×3, first 2 shown]
	v_addc_co_u32_e32 v1, vcc, v1, v21, vcc
	global_load_dword v0, v[0:1], off
	v_mov_b32_e32 v1, s13
	s_waitcnt vmcnt(0)
	v_add_f32_e32 v0, v19, v0
	v_fmac_f32_e32 v18, s6, v0
	v_add_co_u32_e32 v0, vcc, s12, v44
	v_addc_co_u32_e32 v1, vcc, v1, v45, vcc
	global_load_dword v0, v[0:1], off
	v_mov_b32_e32 v1, s13
	s_waitcnt vmcnt(0)
	v_add_f32_e32 v2, v2, v0
	v_add_co_u32_e32 v0, vcc, s12, v40
	v_addc_co_u32_e32 v1, vcc, v1, v41, vcc
	global_load_dword v0, v[0:1], off
	v_mov_b32_e32 v1, s13
	s_waitcnt vmcnt(0)
	v_add_f32_e32 v2, v2, v0
	v_add_co_u32_e32 v0, vcc, s12, v32
	v_addc_co_u32_e32 v1, vcc, v1, v33, vcc
	global_load_dword v0, v[0:1], off
	v_mov_b32_e32 v1, s13
	s_waitcnt vmcnt(0)
	v_add_f32_e32 v2, v2, v0
	v_add_co_u32_e32 v0, vcc, s12, v22
	v_addc_co_u32_e32 v1, vcc, v1, v23, vcc
	global_load_dword v0, v[0:1], off
	v_mov_b32_e32 v1, s13
	s_waitcnt vmcnt(0)
	v_add_f32_e32 v2, v2, v0
	v_add_co_u32_e32 v0, vcc, s12, v16
	v_addc_co_u32_e32 v1, vcc, v1, v17, vcc
	global_load_dword v0, v[0:1], off
	v_mov_b32_e32 v1, s13
	s_waitcnt vmcnt(0)
	v_add_f32_e32 v0, v2, v0
	v_fmac_f32_e32 v18, s7, v0
	v_add_co_u32_e32 v0, vcc, s12, v14
	v_addc_co_u32_e32 v1, vcc, v1, v15, vcc
	global_load_dword v0, v[0:1], off
	v_mov_b32_e32 v1, s13
	s_waitcnt vmcnt(0)
	v_add_f32_e32 v2, v3, v0
	v_add_co_u32_e32 v0, vcc, s12, v12
	v_addc_co_u32_e32 v1, vcc, v1, v13, vcc
	global_load_dword v0, v[0:1], off
	v_mov_b32_e32 v1, s13
	s_waitcnt vmcnt(0)
	v_add_f32_e32 v2, v2, v0
	v_add_co_u32_e32 v0, vcc, s12, v10
	v_addc_co_u32_e32 v1, vcc, v1, v11, vcc
	global_load_dword v0, v[0:1], off
	v_mov_b32_e32 v1, s13
	s_waitcnt vmcnt(0)
	v_add_f32_e32 v2, v2, v0
	v_add_co_u32_e32 v0, vcc, s12, v8
	v_addc_co_u32_e32 v1, vcc, v1, v9, vcc
	global_load_dword v0, v[0:1], off
	v_mov_b32_e32 v1, s13
	s_waitcnt vmcnt(0)
	v_add_f32_e32 v2, v2, v0
	v_add_co_u32_e32 v0, vcc, s12, v6
	v_addc_co_u32_e32 v1, vcc, v1, v7, vcc
	global_load_dword v0, v[0:1], off
	v_mov_b32_e32 v1, s1
	s_waitcnt vmcnt(0)
	v_add_f32_e32 v0, v2, v0
	v_fmac_f32_e32 v18, s16, v0
	v_add_co_u32_e32 v0, vcc, s0, v4
	v_addc_co_u32_e32 v1, vcc, v1, v5, vcc
	global_load_dword v2, v[0:1], off
	s_waitcnt vmcnt(0)
	v_fma_f32 v2, v48, 2.0, -v2
	v_fmac_f32_e32 v2, v47, v18
	global_store_dword v[0:1], v2, off
	v_add_co_u32_e32 v0, vcc, s2, v4
	v_mov_b32_e32 v1, s3
	v_mul_f32_e32 v2, v46, v2
	v_addc_co_u32_e32 v1, vcc, v1, v5, vcc
	global_store_dword v[0:1], v2, off
.LBB0_2:
	s_endpgm
	.section	.rodata,"a",@progbits
	.p2align	6, 0x0
	.amdhsa_kernel _Z4rtm8PKfS0_S0_PfS1_S1_S0_m
		.amdhsa_group_segment_fixed_size 0
		.amdhsa_private_segment_fixed_size 0
		.amdhsa_kernarg_size 320
		.amdhsa_user_sgpr_count 6
		.amdhsa_user_sgpr_private_segment_buffer 1
		.amdhsa_user_sgpr_dispatch_ptr 0
		.amdhsa_user_sgpr_queue_ptr 0
		.amdhsa_user_sgpr_kernarg_segment_ptr 1
		.amdhsa_user_sgpr_dispatch_id 0
		.amdhsa_user_sgpr_flat_scratch_init 0
		.amdhsa_user_sgpr_private_segment_size 0
		.amdhsa_uses_dynamic_stack 0
		.amdhsa_system_sgpr_private_segment_wavefront_offset 0
		.amdhsa_system_sgpr_workgroup_id_x 1
		.amdhsa_system_sgpr_workgroup_id_y 1
		.amdhsa_system_sgpr_workgroup_id_z 1
		.amdhsa_system_sgpr_workgroup_info 0
		.amdhsa_system_vgpr_workitem_id 2
		.amdhsa_next_free_vgpr 50
		.amdhsa_next_free_sgpr 22
		.amdhsa_reserve_vcc 1
		.amdhsa_reserve_flat_scratch 0
		.amdhsa_float_round_mode_32 0
		.amdhsa_float_round_mode_16_64 0
		.amdhsa_float_denorm_mode_32 3
		.amdhsa_float_denorm_mode_16_64 3
		.amdhsa_dx10_clamp 1
		.amdhsa_ieee_mode 1
		.amdhsa_fp16_overflow 0
		.amdhsa_exception_fp_ieee_invalid_op 0
		.amdhsa_exception_fp_denorm_src 0
		.amdhsa_exception_fp_ieee_div_zero 0
		.amdhsa_exception_fp_ieee_overflow 0
		.amdhsa_exception_fp_ieee_underflow 0
		.amdhsa_exception_fp_ieee_inexact 0
		.amdhsa_exception_int_div_zero 0
	.end_amdhsa_kernel
	.text
.Lfunc_end0:
	.size	_Z4rtm8PKfS0_S0_PfS1_S1_S0_m, .Lfunc_end0-_Z4rtm8PKfS0_S0_PfS1_S1_S0_m
                                        ; -- End function
	.set _Z4rtm8PKfS0_S0_PfS1_S1_S0_m.num_vgpr, 50
	.set _Z4rtm8PKfS0_S0_PfS1_S1_S0_m.num_agpr, 0
	.set _Z4rtm8PKfS0_S0_PfS1_S1_S0_m.numbered_sgpr, 22
	.set _Z4rtm8PKfS0_S0_PfS1_S1_S0_m.num_named_barrier, 0
	.set _Z4rtm8PKfS0_S0_PfS1_S1_S0_m.private_seg_size, 0
	.set _Z4rtm8PKfS0_S0_PfS1_S1_S0_m.uses_vcc, 1
	.set _Z4rtm8PKfS0_S0_PfS1_S1_S0_m.uses_flat_scratch, 0
	.set _Z4rtm8PKfS0_S0_PfS1_S1_S0_m.has_dyn_sized_stack, 0
	.set _Z4rtm8PKfS0_S0_PfS1_S1_S0_m.has_recursion, 0
	.set _Z4rtm8PKfS0_S0_PfS1_S1_S0_m.has_indirect_call, 0
	.section	.AMDGPU.csdata,"",@progbits
; Kernel info:
; codeLenInByte = 1960
; TotalNumSgprs: 26
; NumVgprs: 50
; ScratchSize: 0
; MemoryBound: 0
; FloatMode: 240
; IeeeMode: 1
; LDSByteSize: 0 bytes/workgroup (compile time only)
; SGPRBlocks: 3
; VGPRBlocks: 12
; NumSGPRsForWavesPerEU: 26
; NumVGPRsForWavesPerEU: 50
; Occupancy: 4
; WaveLimiterHint : 0
; COMPUTE_PGM_RSRC2:SCRATCH_EN: 0
; COMPUTE_PGM_RSRC2:USER_SGPR: 6
; COMPUTE_PGM_RSRC2:TRAP_HANDLER: 0
; COMPUTE_PGM_RSRC2:TGID_X_EN: 1
; COMPUTE_PGM_RSRC2:TGID_Y_EN: 1
; COMPUTE_PGM_RSRC2:TGID_Z_EN: 1
; COMPUTE_PGM_RSRC2:TIDIG_COMP_CNT: 2
	.section	.AMDGPU.gpr_maximums,"",@progbits
	.set amdgpu.max_num_vgpr, 0
	.set amdgpu.max_num_agpr, 0
	.set amdgpu.max_num_sgpr, 0
	.section	.AMDGPU.csdata,"",@progbits
	.type	__hip_cuid_2707b61aae5cad3a,@object ; @__hip_cuid_2707b61aae5cad3a
	.section	.bss,"aw",@nobits
	.globl	__hip_cuid_2707b61aae5cad3a
__hip_cuid_2707b61aae5cad3a:
	.byte	0                               ; 0x0
	.size	__hip_cuid_2707b61aae5cad3a, 1

	.ident	"AMD clang version 22.0.0git (https://github.com/RadeonOpenCompute/llvm-project roc-7.2.4 26084 f58b06dce1f9c15707c5f808fd002e18c2accf7e)"
	.section	".note.GNU-stack","",@progbits
	.addrsig
	.addrsig_sym __hip_cuid_2707b61aae5cad3a
	.amdgpu_metadata
---
amdhsa.kernels:
  - .args:
      - .actual_access:  read_only
        .address_space:  global
        .offset:         0
        .size:           8
        .value_kind:     global_buffer
      - .actual_access:  read_only
        .address_space:  global
        .offset:         8
        .size:           8
        .value_kind:     global_buffer
      - .actual_access:  read_only
        .address_space:  global
        .offset:         16
        .size:           8
        .value_kind:     global_buffer
      - .address_space:  global
        .offset:         24
        .size:           8
        .value_kind:     global_buffer
      - .address_space:  global
        .offset:         32
        .size:           8
        .value_kind:     global_buffer
      - .actual_access:  write_only
        .address_space:  global
        .offset:         40
        .size:           8
        .value_kind:     global_buffer
      - .actual_access:  read_only
        .address_space:  global
        .offset:         48
        .size:           8
        .value_kind:     global_buffer
      - .offset:         56
        .size:           8
        .value_kind:     by_value
      - .offset:         64
        .size:           4
        .value_kind:     hidden_block_count_x
      - .offset:         68
        .size:           4
        .value_kind:     hidden_block_count_y
      - .offset:         72
        .size:           4
        .value_kind:     hidden_block_count_z
      - .offset:         76
        .size:           2
        .value_kind:     hidden_group_size_x
      - .offset:         78
        .size:           2
        .value_kind:     hidden_group_size_y
      - .offset:         80
        .size:           2
        .value_kind:     hidden_group_size_z
      - .offset:         82
        .size:           2
        .value_kind:     hidden_remainder_x
      - .offset:         84
        .size:           2
        .value_kind:     hidden_remainder_y
      - .offset:         86
        .size:           2
        .value_kind:     hidden_remainder_z
      - .offset:         104
        .size:           8
        .value_kind:     hidden_global_offset_x
      - .offset:         112
        .size:           8
        .value_kind:     hidden_global_offset_y
      - .offset:         120
        .size:           8
        .value_kind:     hidden_global_offset_z
      - .offset:         128
        .size:           2
        .value_kind:     hidden_grid_dims
    .group_segment_fixed_size: 0
    .kernarg_segment_align: 8
    .kernarg_segment_size: 320
    .language:       OpenCL C
    .language_version:
      - 2
      - 0
    .max_flat_workgroup_size: 1024
    .name:           _Z4rtm8PKfS0_S0_PfS1_S1_S0_m
    .private_segment_fixed_size: 0
    .sgpr_count:     26
    .sgpr_spill_count: 0
    .symbol:         _Z4rtm8PKfS0_S0_PfS1_S1_S0_m.kd
    .uniform_work_group_size: 1
    .uses_dynamic_stack: false
    .vgpr_count:     50
    .vgpr_spill_count: 0
    .wavefront_size: 64
amdhsa.target:   amdgcn-amd-amdhsa--gfx906
amdhsa.version:
  - 1
  - 2
...

	.end_amdgpu_metadata
